;; amdgpu-corpus repo=FlagOpen/FlagGems kind=triton arch=gfx950 opt=O3 lang=triton
	.amdgcn_target "amdgcn-amd-amdhsa--gfx950"
	.amdhsa_code_object_version 5
	.text
	.globl	mm_kernel_general               ; -- Begin function mm_kernel_general
	.p2align	8
	.type	mm_kernel_general,@function
mm_kernel_general:                      ; @mm_kernel_general
.Lfunc_begin0:
	.cfi_sections .debug_frame
	.cfi_startproc
; %bb.100:
	.file	1 "/root/src/amdgpu-assembly/repos/FlagOpen__FlagGems/triton_aot_kernels" "mm_aot.py"
	.loc	1 13 0 prologue_end             ; mm_aot.py:13:0
	s_load_dwordx2 s[2:3], s[0:1], 0x0
	s_load_dwordx8 s[4:11], s[0:1], 0x8
	s_load_dwordx4 s[12:15], s[0:1], 0x28
	s_waitcnt lgkmcnt(0)
	s_branch .LBB0_0
	.loc	1 0 0 is_stmt 0                 ; :0:0
.Ltmp0:
	.p2align	8
; %bb.101:
.LBB0_0:
.Ltmp1:
	.file	2 "/root/.local/lib/python3.13/site-packages/triton/language" "standard.py"
	.loc	2 43 17 is_stmt 1               ; standard.py:43:17 @[ mm_aot.py:35:24 ]
	s_add_i32 s19, s9, 63
	.loc	2 43 30 is_stmt 0               ; standard.py:43:30 @[ mm_aot.py:35:24 ]
	s_ashr_i32 s20, s19, 31
	s_lshr_b32 s20, s20, 26
	s_add_i32 s19, s19, s20
	s_ashr_i32 s20, s19, 6
.Ltmp2:
	.loc	1 37 22 is_stmt 1               ; mm_aot.py:37:22
	s_lshl_b32 s20, s20, 3
	.loc	1 38 22                         ; mm_aot.py:38:22
	s_abs_i32 s21, s20
	v_cvt_f32_u32_e32 v1, s21
	s_sub_i32 s25, 0, s21
.Ltmp3:
	.loc	2 43 17                         ; standard.py:43:17 @[ mm_aot.py:34:24 ]
	s_add_i32 s17, s8, 0x7f
.Ltmp4:
	.loc	1 38 22                         ; mm_aot.py:38:22
	s_abs_i32 s24, s16
	v_rcp_iflag_f32_e32 v1, v1
.Ltmp5:
	.loc	2 43 30                         ; standard.py:43:30 @[ mm_aot.py:34:24 ]
	s_ashr_i32 s23, s17, 31
	s_lshr_b32 s23, s23, 25
.Ltmp6:
	.loc	1 76 8                          ; mm_aot.py:76:8
	v_readfirstlane_b32 s22, v0
	.loc	1 38 22                         ; mm_aot.py:38:22
	v_mul_f32_e32 v1, 0x4f7ffffe, v1
	v_cvt_u32_f32_e32 v1, v1
.Ltmp7:
	.loc	2 43 30                         ; standard.py:43:30 @[ mm_aot.py:34:24 ]
	s_add_i32 s17, s17, s23
.Ltmp8:
	.loc	1 38 22                         ; mm_aot.py:38:22
	s_ashr_i32 s23, s16, 31
	s_ashr_i32 s19, s19, 31
	v_readfirstlane_b32 s26, v1
	s_mul_i32 s25, s25, s26
	s_mul_hi_u32 s25, s26, s25
	s_add_i32 s26, s26, s25
	s_mul_hi_u32 s25, s24, s26
	s_mul_i32 s26, s25, s21
	s_sub_i32 s26, s24, s26
	s_mov_b32 s18, s13
	.loc	1 95 16                         ; mm_aot.py:95:16
	s_and_b32 s13, s22, 0x1c0
.Ltmp9:
	.loc	2 43 30                         ; standard.py:43:30 @[ mm_aot.py:34:24 ]
	s_ashr_i32 s17, s17, 7
.Ltmp10:
	.loc	1 38 22                         ; mm_aot.py:38:22
	s_xor_b32 s19, s23, s19
	s_add_i32 s27, s25, 1
	s_sub_i32 s28, s26, s21
	s_cmp_ge_u32 s26, s21
	s_cselect_b32 s25, s27, s25
	s_cselect_b32 s26, s28, s26
	s_add_i32 s27, s25, 1
	s_cmp_ge_u32 s26, s21
	s_cselect_b32 s21, s27, s25
	s_xor_b32 s21, s21, s19
	s_sub_i32 s19, s21, s19
	.loc	1 39 41                         ; mm_aot.py:39:41
	s_lshl_b32 s21, s19, 3
	.loc	1 39 30 is_stmt 0               ; mm_aot.py:39:30
	s_sub_i32 s17, s17, s21
	.loc	1 39 50                         ; mm_aot.py:39:50
	s_min_i32 s17, s17, 8
	.loc	1 40 40 is_stmt 1               ; mm_aot.py:40:40
	s_abs_i32 s25, s17
	v_cvt_f32_u32_e32 v1, s25
	s_sub_i32 s26, 0, s25
	.loc	1 41 19                         ; mm_aot.py:41:19
	s_mul_i32 s19, s19, s20
	.loc	1 43 40                         ; mm_aot.py:43:40
	v_and_b32_e32 v17, 63, v0
	.loc	1 40 40                         ; mm_aot.py:40:40
	v_rcp_iflag_f32_e32 v1, v1
	.loc	1 43 40                         ; mm_aot.py:43:40
	v_and_b32_e32 v54, 31, v0
	.loc	1 40 40                         ; mm_aot.py:40:40
	v_mul_f32_e32 v1, 0x4f7ffffe, v1
	v_cvt_u32_f32_e32 v1, v1
	s_nop 0
	v_readfirstlane_b32 s27, v1
	s_mul_i32 s26, s26, s27
	s_mul_hi_u32 s26, s27, s26
	s_add_i32 s27, s27, s26
	s_mul_hi_u32 s26, s24, s27
	s_mul_i32 s26, s26, s25
	s_sub_i32 s24, s24, s26
	s_sub_i32 s26, s24, s25
	s_cmp_ge_u32 s24, s25
	s_cselect_b32 s24, s26, s24
	s_sub_i32 s26, s24, s25
	s_cmp_ge_u32 s24, s25
	s_cselect_b32 s24, s26, s24
	.loc	1 41 19                         ; mm_aot.py:41:19
	s_sub_i32 s16, s16, s19
	.loc	1 41 30 is_stmt 0               ; mm_aot.py:41:30
	s_xor_b32 s17, s16, s17
	s_abs_i32 s16, s16
	s_mul_hi_u32 s19, s16, s27
	.loc	1 40 40 is_stmt 1               ; mm_aot.py:40:40
	s_xor_b32 s24, s24, s23
	.loc	1 41 30                         ; mm_aot.py:41:30
	s_mul_i32 s20, s19, s25
	.loc	1 40 40                         ; mm_aot.py:40:40
	s_sub_i32 s23, s24, s23
	.loc	1 41 30                         ; mm_aot.py:41:30
	s_sub_i32 s16, s16, s20
	.loc	1 40 34                         ; mm_aot.py:40:34
	s_add_i32 s21, s21, s23
	.loc	1 41 30                         ; mm_aot.py:41:30
	s_ashr_i32 s17, s17, 31
	s_add_i32 s20, s19, 1
	s_sub_i32 s23, s16, s25
	s_cmp_ge_u32 s16, s25
	s_cselect_b32 s19, s20, s19
	s_cselect_b32 s16, s23, s16
	s_add_i32 s20, s19, 1
	s_cmp_ge_u32 s16, s25
	s_cselect_b32 s16, s20, s19
	.loc	1 45 48                         ; mm_aot.py:45:48
	s_abs_i32 s19, s8
	v_cvt_f32_u32_e32 v2, s19
	.loc	1 41 30                         ; mm_aot.py:41:30
	s_xor_b32 s16, s16, s17
	.loc	1 43 40                         ; mm_aot.py:43:40
	v_or_b32_e32 v1, s13, v17
	.loc	1 41 30                         ; mm_aot.py:41:30
	s_sub_i32 s25, s16, s17
	.loc	1 45 48                         ; mm_aot.py:45:48
	v_rcp_iflag_f32_e32 v2, v2
	.loc	1 43 17                         ; mm_aot.py:43:17
	s_lshl_b32 s28, s21, 7
	.loc	1 43 40 is_stmt 0               ; mm_aot.py:43:40
	v_lshrrev_b32_e32 v3, 5, v1
	.loc	1 45 48 is_stmt 1               ; mm_aot.py:45:48
	s_sub_i32 s16, 0, s19
	v_mul_f32_e32 v2, 0x4f7ffffe, v2
	v_cvt_u32_f32_e32 v2, v2
	.loc	1 43 27                         ; mm_aot.py:43:27
	v_or_b32_e32 v3, s28, v3
	.loc	1 45 48                         ; mm_aot.py:45:48
	s_bfe_i32 s23, s21, 0x10018
	v_add_u32_e32 v22, s23, v3
	v_mul_lo_u32 v4, s16, v2
	v_mul_hi_u32 v4, v2, v4
	v_xor_b32_e32 v3, s23, v22
	v_add_u32_e32 v14, v2, v4
	v_mul_hi_u32 v2, v3, v14
	v_mul_lo_u32 v2, v2, s19
	v_sub_u32_e32 v2, v3, v2
	v_subrev_u32_e32 v3, s19, v2
	v_cmp_le_u32_e32 vcc, s19, v2
	.loc	1 46 48                         ; mm_aot.py:46:48
	s_abs_i32 s24, s9
	v_cvt_f32_u32_e32 v6, s24
	.loc	1 45 48                         ; mm_aot.py:45:48
	v_cndmask_b32_e32 v2, v2, v3, vcc
	v_subrev_u32_e32 v3, s19, v2
	v_cmp_le_u32_e32 vcc, s19, v2
	s_nop 1
	v_cndmask_b32_e32 v2, v2, v3, vcc
	v_add_u32_e32 v3, 16, v22
	v_xor_b32_e32 v13, s23, v3
	v_add_u32_e32 v3, 32, v22
	v_xor_b32_e32 v23, s23, v3
	;; [unrolled: 2-line block ×3, first 2 shown]
	v_mad_u64_u32 v[8:9], s[16:17], v13, v14, 0
	v_mad_u64_u32 v[10:11], s[16:17], v23, v14, 0
	;; [unrolled: 1-line block ×3, first 2 shown]
.Ltmp11:
	.loc	2 43 17                         ; standard.py:43:17 @[ mm_aot.py:10:22 @[ mm_aot.py:49:40 ] ]
	s_add_i32 s16, s10, 31
	.loc	2 43 30 is_stmt 0               ; standard.py:43:30 @[ mm_aot.py:10:22 @[ mm_aot.py:49:40 ] ]
	s_ashr_i32 s17, s16, 31
	s_lshr_b32 s17, s17, 27
.Ltmp12:
	.loc	1 46 48 is_stmt 1               ; mm_aot.py:46:48
	v_rcp_iflag_f32_e32 v3, v6
.Ltmp13:
	.loc	2 43 30                         ; standard.py:43:30 @[ mm_aot.py:10:22 @[ mm_aot.py:49:40 ] ]
	s_add_i32 s16, s16, s17
.Ltmp14:
	.loc	1 45 48                         ; mm_aot.py:45:48
	v_xor_b32_e32 v2, s23, v2
.Ltmp15:
	.loc	1 10 27                         ; mm_aot.py:10:27 @[ mm_aot.py:49:40 ]
	s_andn2_b32 s16, s16, 31
.Ltmp16:
	.loc	1 45 48                         ; mm_aot.py:45:48
	v_subrev_u32_e32 v2, s23, v2
.Ltmp17:
	.loc	1 10 31                         ; mm_aot.py:10:31 @[ mm_aot.py:49:40 ]
	s_sub_i32 s30, s16, 32
.Ltmp18:
	.loc	1 45 48                         ; mm_aot.py:45:48
	v_add_u32_e32 v4, 64, v22
	.loc	1 57 40                         ; mm_aot.py:57:40
	v_mad_i64_i32 v[36:37], s[16:17], v2, s11, 0
	.loc	1 55 43                         ; mm_aot.py:55:43
	s_cmp_gt_i32 s30, 0
	.loc	1 45 48                         ; mm_aot.py:45:48
	v_xor_b32_e32 v15, s23, v4
	v_add_u32_e32 v6, 0x50, v22
	.loc	1 46 48                         ; mm_aot.py:46:48
	v_mul_f32_e32 v4, 0x4f7ffffe, v3
	.loc	1 55 43                         ; mm_aot.py:55:43
	s_cselect_b64 s[20:21], -1, 0
	s_cmp_lt_i32 s30, 1
	.loc	1 57 66                         ; mm_aot.py:57:66
	v_mad_i64_i32 v[2:3], s[16:17], s12, v54, 0
	v_lshl_add_u64 v[18:19], v[36:37], 1, s[2:3]
	.loc	1 57 20 is_stmt 0               ; mm_aot.py:57:20
	s_cbranch_scc1 .LBB0_2
; %bb.1:
	.loc	1 0 20                          ; mm_aot.py:0:20
	v_lshl_add_u64 v[20:21], v[2:3], 1, v[18:19]
	.loc	1 57 20                         ; mm_aot.py:57:20
	global_load_ushort v12, v[20:21], off
	s_branch .LBB0_3
.LBB0_2:
	.loc	1 0 20                          ; mm_aot.py:0:20
	v_mov_b32_e32 v12, 0
.LBB0_3:
	v_xor_b32_e32 v16, s23, v6
	v_mad_u64_u32 v[6:7], s[16:17], v15, v14, 0
	.loc	1 45 48 is_stmt 1               ; mm_aot.py:45:48
	v_mul_lo_u32 v6, v9, s19
	v_sub_u32_e32 v6, v13, v6
	v_subrev_u32_e32 v9, s19, v6
	v_cmp_le_u32_e32 vcc, s19, v6
	v_cvt_u32_f32_e32 v4, v4
	s_lshl_b32 s29, s25, 6
	v_cndmask_b32_e32 v6, v6, v9, vcc
	v_subrev_u32_e32 v9, s19, v6
	v_cmp_le_u32_e32 vcc, s19, v6
	s_sub_i32 s26, 0, s24
	.loc	1 0 0 is_stmt 0                 ; mm_aot.py:0
	v_add_u32_e32 v8, 0x60, v22
	.loc	1 45 48                         ; mm_aot.py:45:48
	v_cndmask_b32_e32 v6, v6, v9, vcc
	v_xor_b32_e32 v6, s23, v6
	v_subrev_u32_e32 v6, s23, v6
	.loc	1 57 40 is_stmt 1               ; mm_aot.py:57:40
	v_mad_i64_i32 v[38:39], s[16:17], v6, s11, 0
	.loc	1 57 20 is_stmt 0               ; mm_aot.py:57:20
	v_cndmask_b32_e64 v6, 0, 1, s[20:21]
	v_cmp_ne_u32_e64 s[16:17], 1, v6
	s_andn2_b64 vcc, exec, s[20:21]
	.loc	1 57 25                         ; mm_aot.py:57:25
	v_lshl_add_u64 v[20:21], v[38:39], 1, s[2:3]
	.loc	1 57 20                         ; mm_aot.py:57:20
	s_cbranch_vccnz .LBB0_5
; %bb.4:
	.loc	1 57 25                         ; mm_aot.py:57:25
	v_lshl_add_u64 v[26:27], v[2:3], 1, v[20:21]
	.loc	1 57 20                         ; mm_aot.py:57:20
	global_load_ushort v13, v[26:27], off
	s_branch .LBB0_6
.LBB0_5:
	.loc	1 0 20                          ; mm_aot.py:0:20
	v_mov_b32_e32 v13, 0
.LBB0_6:
	v_or_b32_e32 v6, s29, v17
	v_mul_lo_u32 v25, s26, v4
	v_xor_b32_e32 v17, s23, v8
	v_mad_u64_u32 v[8:9], s[26:27], v16, v14, 0
	.loc	1 45 48 is_stmt 1               ; mm_aot.py:45:48
	v_mul_lo_u32 v8, v11, s19
	v_sub_u32_e32 v8, v23, v8
	v_subrev_u32_e32 v11, s19, v8
	v_cmp_le_u32_e32 vcc, s19, v8
	.loc	1 0 0 is_stmt 0                 ; mm_aot.py:0
	s_bfe_i32 s20, s25, 0x10019
	v_add_u32_e32 v10, 0x70, v22
	.loc	1 45 48                         ; mm_aot.py:45:48
	v_cndmask_b32_e32 v8, v8, v11, vcc
	v_subrev_u32_e32 v11, s19, v8
	v_cmp_le_u32_e32 vcc, s19, v8
	s_nop 1
	v_cndmask_b32_e32 v8, v8, v11, vcc
	v_xor_b32_e32 v8, s23, v8
	v_subrev_u32_e32 v8, s23, v8
	.loc	1 57 40 is_stmt 1               ; mm_aot.py:57:40
	v_mad_i64_i32 v[40:41], s[26:27], v8, s11, 0
	.loc	1 57 20 is_stmt 0               ; mm_aot.py:57:20
	s_and_b64 vcc, exec, s[16:17]
	.loc	1 57 25                         ; mm_aot.py:57:25
	v_lshl_add_u64 v[22:23], v[40:41], 1, s[2:3]
	.loc	1 57 20                         ; mm_aot.py:57:20
	s_cbranch_vccnz .LBB0_8
; %bb.7:
	.loc	1 57 25                         ; mm_aot.py:57:25
	v_lshl_add_u64 v[26:27], v[2:3], 1, v[22:23]
	.loc	1 57 20                         ; mm_aot.py:57:20
	global_load_ushort v8, v[26:27], off
	s_branch .LBB0_9
.LBB0_8:
	.loc	1 0 20                          ; mm_aot.py:0:20
	v_mov_b32_e32 v8, 0
.LBB0_9:
	.loc	1 45 48 is_stmt 1               ; mm_aot.py:45:48
	v_mul_lo_u32 v5, v5, s19
	.loc	1 0 0 is_stmt 0                 ; mm_aot.py:0
	v_xor_b32_e32 v26, s23, v10
	v_mad_u64_u32 v[10:11], s[26:27], v17, v14, 0
	.loc	1 45 48                         ; mm_aot.py:45:48
	v_sub_u32_e32 v5, v24, v5
	v_subrev_u32_e32 v10, s19, v5
	v_cmp_le_u32_e32 vcc, s19, v5
	.loc	1 0 0                           ; mm_aot.py:0
	v_add_u32_e32 v6, s20, v6
	v_mul_hi_u32 v28, v4, v25
	.loc	1 45 48                         ; mm_aot.py:45:48
	v_cndmask_b32_e32 v5, v5, v10, vcc
	v_subrev_u32_e32 v10, s19, v5
	v_cmp_le_u32_e32 vcc, s19, v5
	s_nop 1
	v_cndmask_b32_e32 v5, v5, v10, vcc
	v_xor_b32_e32 v5, s23, v5
	v_subrev_u32_e32 v5, s23, v5
	.loc	1 57 40 is_stmt 1               ; mm_aot.py:57:40
	v_mad_i64_i32 v[42:43], s[26:27], v5, s11, 0
	.loc	1 57 20 is_stmt 0               ; mm_aot.py:57:20
	s_and_b64 vcc, exec, s[16:17]
	.loc	1 57 25                         ; mm_aot.py:57:25
	v_lshl_add_u64 v[24:25], v[42:43], 1, s[2:3]
	.loc	1 57 20                         ; mm_aot.py:57:20
	s_cbranch_vccnz .LBB0_11
; %bb.10:
	.loc	1 57 25                         ; mm_aot.py:57:25
	v_lshl_add_u64 v[30:31], v[2:3], 1, v[24:25]
	.loc	1 57 20                         ; mm_aot.py:57:20
	global_load_ushort v10, v[30:31], off
	s_branch .LBB0_12
.LBB0_11:
	.loc	1 0 20                          ; mm_aot.py:0:20
	v_mov_b32_e32 v10, 0
.LBB0_12:
	v_xor_b32_e32 v27, s20, v6
	v_add_u32_e32 v6, v4, v28
	v_mad_u64_u32 v[4:5], s[26:27], v26, v14, 0
	.loc	1 45 48 is_stmt 1               ; mm_aot.py:45:48
	v_mul_lo_u32 v4, v7, s19
	v_sub_u32_e32 v4, v15, v4
	v_subrev_u32_e32 v7, s19, v4
	v_cmp_le_u32_e32 vcc, s19, v4
	s_nop 1
	v_cndmask_b32_e32 v4, v4, v7, vcc
	v_subrev_u32_e32 v7, s19, v4
	v_cmp_le_u32_e32 vcc, s19, v4
	s_nop 1
	v_cndmask_b32_e32 v4, v4, v7, vcc
	v_xor_b32_e32 v4, s23, v4
	v_subrev_u32_e32 v4, s23, v4
	.loc	1 57 40                         ; mm_aot.py:57:40
	v_mad_i64_i32 v[44:45], s[26:27], v4, s11, 0
	.loc	1 57 20 is_stmt 0               ; mm_aot.py:57:20
	s_and_b64 vcc, exec, s[16:17]
	.loc	1 57 25                         ; mm_aot.py:57:25
	v_lshl_add_u64 v[28:29], v[44:45], 1, s[2:3]
	.loc	1 57 20                         ; mm_aot.py:57:20
	s_cbranch_vccnz .LBB0_14
; %bb.13:
	.loc	1 57 25                         ; mm_aot.py:57:25
	v_lshl_add_u64 v[14:15], v[2:3], 1, v[28:29]
	.loc	1 57 20                         ; mm_aot.py:57:20
	global_load_ushort v4, v[14:15], off
	s_branch .LBB0_15
.LBB0_14:
	.loc	1 0 20                          ; mm_aot.py:0:20
	v_mov_b32_e32 v4, 0
.LBB0_15:
	v_mad_u64_u32 v[6:7], s[26:27], v27, v6, 0
	.loc	1 45 48 is_stmt 1               ; mm_aot.py:45:48
	v_mul_lo_u32 v6, v9, s19
	v_sub_u32_e32 v6, v16, v6
	v_subrev_u32_e32 v9, s19, v6
	v_cmp_le_u32_e32 vcc, s19, v6
	s_nop 1
	v_cndmask_b32_e32 v6, v6, v9, vcc
	v_subrev_u32_e32 v9, s19, v6
	v_cmp_le_u32_e32 vcc, s19, v6
	s_nop 1
	v_cndmask_b32_e32 v6, v6, v9, vcc
	v_xor_b32_e32 v6, s23, v6
	v_subrev_u32_e32 v6, s23, v6
	.loc	1 57 40                         ; mm_aot.py:57:40
	v_mad_i64_i32 v[46:47], s[26:27], v6, s11, 0
	.loc	1 57 20 is_stmt 0               ; mm_aot.py:57:20
	s_and_b64 vcc, exec, s[16:17]
	.loc	1 57 25                         ; mm_aot.py:57:25
	v_lshl_add_u64 v[30:31], v[46:47], 1, s[2:3]
	.loc	1 57 20                         ; mm_aot.py:57:20
	s_cbranch_vccnz .LBB0_17
; %bb.16:
	.loc	1 57 25                         ; mm_aot.py:57:25
	v_lshl_add_u64 v[14:15], v[2:3], 1, v[30:31]
	.loc	1 57 20                         ; mm_aot.py:57:20
	global_load_ushort v6, v[14:15], off
	s_branch .LBB0_18
.LBB0_17:
	.loc	1 0 20                          ; mm_aot.py:0:20
	v_mov_b32_e32 v6, 0
.LBB0_18:
	.loc	1 45 48 is_stmt 1               ; mm_aot.py:45:48
	v_mul_lo_u32 v9, v11, s19
	v_sub_u32_e32 v9, v17, v9
	v_subrev_u32_e32 v11, s19, v9
	v_cmp_le_u32_e32 vcc, s19, v9
	s_nop 1
	v_cndmask_b32_e32 v9, v9, v11, vcc
	v_subrev_u32_e32 v11, s19, v9
	v_cmp_le_u32_e32 vcc, s19, v9
	s_nop 1
	v_cndmask_b32_e32 v9, v9, v11, vcc
	v_xor_b32_e32 v9, s23, v9
	v_subrev_u32_e32 v9, s23, v9
	.loc	1 57 40                         ; mm_aot.py:57:40
	v_mad_i64_i32 v[48:49], s[26:27], v9, s11, 0
	.loc	1 57 20 is_stmt 0               ; mm_aot.py:57:20
	s_and_b64 vcc, exec, s[16:17]
	.loc	1 57 25                         ; mm_aot.py:57:25
	v_lshl_add_u64 v[32:33], v[48:49], 1, s[2:3]
	.loc	1 57 20                         ; mm_aot.py:57:20
	s_cbranch_vccnz .LBB0_20
; %bb.19:
	.loc	1 57 25                         ; mm_aot.py:57:25
	v_lshl_add_u64 v[14:15], v[2:3], 1, v[32:33]
	.loc	1 57 20                         ; mm_aot.py:57:20
	global_load_ushort v9, v[14:15], off
	s_branch .LBB0_21
.LBB0_20:
	.loc	1 0 20                          ; mm_aot.py:0:20
	v_mov_b32_e32 v9, 0
.LBB0_21:
	.loc	1 45 48 is_stmt 1               ; mm_aot.py:45:48
	v_mul_lo_u32 v5, v5, s19
	v_sub_u32_e32 v5, v26, v5
	v_subrev_u32_e32 v11, s19, v5
	v_cmp_le_u32_e32 vcc, s19, v5
	s_nop 1
	v_cndmask_b32_e32 v5, v5, v11, vcc
	v_subrev_u32_e32 v11, s19, v5
	v_cmp_le_u32_e32 vcc, s19, v5
	s_nop 1
	v_cndmask_b32_e32 v5, v5, v11, vcc
	v_xor_b32_e32 v5, s23, v5
	v_subrev_u32_e32 v5, s23, v5
	.loc	1 57 40                         ; mm_aot.py:57:40
	v_mad_i64_i32 v[52:53], s[26:27], v5, s11, 0
	.loc	1 57 20 is_stmt 0               ; mm_aot.py:57:20
	s_and_b64 vcc, exec, s[16:17]
	.loc	1 57 25                         ; mm_aot.py:57:25
	v_lshl_add_u64 v[34:35], v[52:53], 1, s[2:3]
	.loc	1 57 20                         ; mm_aot.py:57:20
	s_cbranch_vccnz .LBB0_23
; %bb.22:
	.loc	1 57 25                         ; mm_aot.py:57:25
	v_lshl_add_u64 v[2:3], v[2:3], 1, v[34:35]
	.loc	1 57 20                         ; mm_aot.py:57:20
	global_load_ushort v2, v[2:3], off
	s_branch .LBB0_24
.LBB0_23:
	.loc	1 0 20                          ; mm_aot.py:0:20
	v_mov_b32_e32 v2, 0
.LBB0_24:
	.loc	1 46 48 is_stmt 1               ; mm_aot.py:46:48
	v_mul_lo_u32 v3, v7, s24
	v_sub_u32_e32 v3, v27, v3
	v_subrev_u32_e32 v5, s24, v3
	v_cmp_le_u32_e32 vcc, s24, v3
	.loc	1 56 37                         ; mm_aot.py:56:37
	s_lshr_b32 s31, s13, 6
	.loc	1 58 39                         ; mm_aot.py:58:39
	s_ashr_i32 s19, s18, 31
	.loc	1 46 48                         ; mm_aot.py:46:48
	v_cndmask_b32_e32 v3, v3, v5, vcc
	v_subrev_u32_e32 v5, s24, v3
	v_cmp_le_u32_e32 vcc, s24, v3
	s_nop 1
	v_cndmask_b32_e32 v3, v3, v5, vcc
	v_xor_b32_e32 v3, s20, v3
	v_subrev_u32_e32 v3, s20, v3
	.loc	1 58 20                         ; mm_aot.py:58:20
	s_and_b64 vcc, exec, s[16:17]
	.loc	1 58 66 is_stmt 0               ; mm_aot.py:58:66
	v_mad_i64_i32 v[26:27], s[20:21], v3, s14, 0
	.loc	1 58 20                         ; mm_aot.py:58:20
	s_cbranch_vccnz .LBB0_29
; %bb.25:
	.loc	1 58 39                         ; mm_aot.py:58:39
	s_mul_hi_i32 s21, s31, s18
	s_mul_i32 s20, s31, s18
	.loc	1 58 25                         ; mm_aot.py:58:25
	s_lshl_b64 s[20:21], s[20:21], 1
	s_add_u32 s20, s4, s20
	s_addc_u32 s21, s5, s21
	v_lshl_add_u64 v[14:15], v[26:27], 1, s[20:21]
	.loc	1 58 20                         ; mm_aot.py:58:20
	global_load_ushort v3, v[14:15], off
	s_and_b64 vcc, exec, s[16:17]
	.loc	1 56 37 is_stmt 1               ; mm_aot.py:56:37
	s_or_b32 s33, s31, 8
	.loc	1 58 20                         ; mm_aot.py:58:20
	s_cbranch_vccnz .LBB0_30
.LBB0_26:
	.loc	1 58 39 is_stmt 0               ; mm_aot.py:58:39
	s_mul_hi_i32 s21, s33, s18
	s_mul_i32 s20, s33, s18
	.loc	1 58 25                         ; mm_aot.py:58:25
	s_lshl_b64 s[20:21], s[20:21], 1
	s_add_u32 s20, s4, s20
	s_addc_u32 s21, s5, s21
	v_lshl_add_u64 v[14:15], v[26:27], 1, s[20:21]
	.loc	1 58 20                         ; mm_aot.py:58:20
	global_load_ushort v5, v[14:15], off
	s_and_b64 vcc, exec, s[16:17]
	.loc	1 56 37 is_stmt 1               ; mm_aot.py:56:37
	s_or_b32 s34, s31, 16
	.loc	1 58 20                         ; mm_aot.py:58:20
	s_cbranch_vccnz .LBB0_31
.LBB0_27:
	.loc	1 58 39 is_stmt 0               ; mm_aot.py:58:39
	s_mul_hi_i32 s21, s34, s18
	s_mul_i32 s20, s34, s18
	.loc	1 58 25                         ; mm_aot.py:58:25
	s_lshl_b64 s[20:21], s[20:21], 1
	s_add_u32 s20, s4, s20
	s_addc_u32 s21, s5, s21
	v_lshl_add_u64 v[14:15], v[26:27], 1, s[20:21]
	.loc	1 58 20                         ; mm_aot.py:58:20
	global_load_ushort v7, v[14:15], off
	s_ashr_i32 s13, s12, 31
	s_and_b64 vcc, exec, s[16:17]
	.loc	1 56 37 is_stmt 1               ; mm_aot.py:56:37
	s_or_b32 s35, s31, 24
	.loc	1 58 20                         ; mm_aot.py:58:20
	s_cbranch_vccnz .LBB0_32
.LBB0_28:
	.loc	1 58 39 is_stmt 0               ; mm_aot.py:58:39
	s_mul_hi_i32 s17, s35, s18
	s_mul_i32 s16, s35, s18
	.loc	1 58 25                         ; mm_aot.py:58:25
	s_lshl_b64 s[16:17], s[16:17], 1
	s_add_u32 s16, s4, s16
	s_addc_u32 s17, s5, s17
	v_lshl_add_u64 v[14:15], v[26:27], 1, s[16:17]
	.loc	1 58 20                         ; mm_aot.py:58:20
	global_load_ushort v11, v[14:15], off
	s_branch .LBB0_33
.LBB0_29:
	.loc	1 0 20                          ; mm_aot.py:0:20
	v_mov_b32_e32 v3, 0
	.loc	1 58 20                         ; mm_aot.py:58:20
	s_and_b64 vcc, exec, s[16:17]
	.loc	1 56 37 is_stmt 1               ; mm_aot.py:56:37
	s_or_b32 s33, s31, 8
	.loc	1 58 20                         ; mm_aot.py:58:20
	s_cbranch_vccz .LBB0_26
.LBB0_30:
	.loc	1 0 20 is_stmt 0                ; mm_aot.py:0:20
	v_mov_b32_e32 v5, 0
	.loc	1 58 20                         ; mm_aot.py:58:20
	s_and_b64 vcc, exec, s[16:17]
	.loc	1 56 37 is_stmt 1               ; mm_aot.py:56:37
	s_or_b32 s34, s31, 16
	.loc	1 58 20                         ; mm_aot.py:58:20
	s_cbranch_vccz .LBB0_27
.LBB0_31:
	.loc	1 0 20 is_stmt 0                ; mm_aot.py:0:20
	v_mov_b32_e32 v7, 0
	s_ashr_i32 s13, s12, 31
	.loc	1 58 20                         ; mm_aot.py:58:20
	s_and_b64 vcc, exec, s[16:17]
	.loc	1 56 37 is_stmt 1               ; mm_aot.py:56:37
	s_or_b32 s35, s31, 24
	.loc	1 58 20                         ; mm_aot.py:58:20
	s_cbranch_vccz .LBB0_28
.LBB0_32:
	.loc	1 0 20 is_stmt 0                ; mm_aot.py:0:20
	v_mov_b32_e32 v11, 0
.LBB0_33:
	.loc	1 43 40 is_stmt 1               ; mm_aot.py:43:40
	s_and_b32 s14, s22, 0x180
	.loc	1 57 20                         ; mm_aot.py:57:20
	v_lshlrev_b32_e32 v1, 1, v1
	s_lshr_b32 s16, s14, 3
	v_xor_b32_e32 v1, s16, v1
	v_add_u32_e32 v56, 0, v1
	v_xor_b32_e32 v1, 64, v1
	.loc	1 44 40                         ; mm_aot.py:44:40
	v_and_b32_e32 v55, 32, v0
	s_and_b32 s11, s22, 64
	.loc	1 58 20                         ; mm_aot.py:58:20
	v_add_u32_e32 v57, 0, v1
	.loc	1 55 43                         ; mm_aot.py:55:43
	s_sub_i32 s36, s30, 32
	.loc	1 57 20                         ; mm_aot.py:57:20
	s_waitcnt vmcnt(0)
	ds_write_b16 v56, v12
	ds_write_b16 v56, v13 offset:1024
	ds_write_b16 v56, v8 offset:2048
	;; [unrolled: 1-line block ×7, first 2 shown]
	.loc	1 58 20                         ; mm_aot.py:58:20
	ds_write_b16 v56, v3 offset:8192
	ds_write_b16 v56, v7 offset:10240
	;; [unrolled: 1-line block ×4, first 2 shown]
	.loc	1 55 43                         ; mm_aot.py:55:43
	s_cmp_gt_i32 s36, 0
	v_lshlrev_b32_e32 v1, 6, v54
	v_lshlrev_b32_e32 v6, 2, v0
	v_lshrrev_b32_e32 v5, 1, v55
	v_lshlrev_b32_e32 v2, 5, v0
	v_lshlrev_b32_e32 v3, 3, v0
	;; [unrolled: 1-line block ×3, first 2 shown]
	s_cbranch_scc1 .LBB0_36
; %bb.34:                               ; %.._crit_edge_crit_edge
	.loc	1 57 20                         ; mm_aot.py:57:20
	s_lshl_b32 s16, s14, 4
	v_and_b32_e32 v7, 48, v6
	v_or_b32_e32 v8, s16, v7
	v_bitop3_b32 v7, s16, v5, v7 bitop3:0x36
	v_bitop3_b32 v58, v8, v1, v5 bitop3:0xde
	;; [unrolled: 1-line block ×3, first 2 shown]
	.loc	1 58 20                         ; mm_aot.py:58:20
	v_and_b32_e32 v7, 0x580, v2
	v_and_b32_e32 v8, 24, v3
	;; [unrolled: 1-line block ×3, first 2 shown]
	v_bitop3_b32 v7, v7, v9, v8 bitop3:0x36
	v_xor_b32_e32 v60, s11, v7
	v_xor_b32_e32 v61, 0x220, v60
	s_cbranch_execz .LBB0_37
; %bb.35:
	.loc	1 0 20 is_stmt 0                ; mm_aot.py:0:20
	v_mov_b32_e32 v2, 0
	v_mov_b32_e32 v3, v2
	;; [unrolled: 1-line block ×16, first 2 shown]
	s_branch .LBB0_40
.LBB0_36:
                                        ; implicit-def: $vgpr58
                                        ; implicit-def: $vgpr59
                                        ; implicit-def: $vgpr60
                                        ; implicit-def: $vgpr61
.LBB0_37:                               ; %.lr.ph
	s_lshl_b32 s16, s14, 4
	v_and_b32_e32 v6, 48, v6
	v_or_b32_e32 v7, s16, v6
	v_bitop3_b32 v6, s16, v5, v6 bitop3:0x36
	v_bitop3_b32 v58, v7, v1, v5 bitop3:0xde
	;; [unrolled: 1-line block ×3, first 2 shown]
	v_and_b32_e32 v1, 0x580, v2
	v_and_b32_e32 v2, 24, v3
	;; [unrolled: 1-line block ×3, first 2 shown]
	v_bitop3_b32 v1, v1, v3, v2 bitop3:0x36
	v_xor_b32_e32 v60, s11, v1
	.loc	1 56 24 is_stmt 1               ; mm_aot.py:56:24
	v_or_b32_e32 v1, 32, v54
	.loc	1 57 66                         ; mm_aot.py:57:66
	v_mad_i64_i32 v[2:3], s[16:17], v1, s12, 0
	.loc	1 57 25 is_stmt 0               ; mm_aot.py:57:25
	v_lshlrev_b64 v[2:3], 1, v[2:3]
	v_lshl_add_u64 v[4:5], v[18:19], 0, v[2:3]
	.loc	1 58 20 is_stmt 1               ; mm_aot.py:58:20
	v_add_u32_e32 v64, 0, v60
	v_xor_b32_e32 v1, 32, v60
	v_add_u32_e32 v62, 0, v58
	.loc	1 57 25                         ; mm_aot.py:57:25
	v_lshl_add_u64 v[6:7], v[20:21], 0, v[2:3]
	v_lshl_add_u64 v[8:9], v[22:23], 0, v[2:3]
	;; [unrolled: 1-line block ×7, first 2 shown]
	.loc	1 57 20 is_stmt 0               ; mm_aot.py:57:20
	global_load_ushort v90, v[4:5], off
	global_load_ushort v91, v[6:7], off
	;; [unrolled: 1-line block ×8, first 2 shown]
	s_waitcnt lgkmcnt(0)
	s_barrier
	.loc	1 58 20 is_stmt 1               ; mm_aot.py:58:20
	v_add_u32_e32 v65, 0, v1
	ds_read_b64_tr_b16 v[82:83], v64 offset:8192
	ds_read_b64_tr_b16 v[84:85], v65 offset:8704
	v_add_u32_e32 v63, 0, v59
	.loc	1 57 20                         ; mm_aot.py:57:20
	ds_read_b128 v[74:77], v62
	ds_read_b128 v[78:81], v63
	.loc	1 56 24                         ; mm_aot.py:56:24
	s_or_b32 s20, s31, 32
	.loc	1 55 43                         ; mm_aot.py:55:43
	v_lshl_add_u64 v[50:51], v[26:27], 1, s[4:5]
	.loc	1 56 24                         ; mm_aot.py:56:24
	s_or_b32 s23, s31, 40
	s_or_b32 s24, s31, 48
	;; [unrolled: 1-line block ×3, first 2 shown]
	.loc	1 58 39                         ; mm_aot.py:58:39
	s_mul_hi_i32 s17, s20, s18
	s_mul_i32 s16, s20, s18
	s_mul_hi_i32 s21, s23, s18
	s_mul_i32 s20, s23, s18
	;; [unrolled: 2-line block ×4, first 2 shown]
	.loc	1 58 25 is_stmt 0               ; mm_aot.py:58:25
	v_lshl_add_u64 v[66:67], s[16:17], 1, v[50:51]
	v_lshl_add_u64 v[68:69], s[20:21], 1, v[50:51]
	;; [unrolled: 1-line block ×4, first 2 shown]
	.loc	1 65 29 is_stmt 1               ; mm_aot.py:65:29
	s_waitcnt lgkmcnt(1)
	v_mfma_f32_32x32x16_f16 v[2:17], v[82:85], v[74:77], 0
	.loc	1 58 20                         ; mm_aot.py:58:20
	global_load_ushort v1, v[66:67], off
	global_load_ushort v74, v[70:71], off
	;; [unrolled: 1-line block ×4, first 2 shown]
	ds_read_b64_tr_b16 v[86:87], v64 offset:10240
	ds_read_b64_tr_b16 v[88:89], v65 offset:10752
	s_mov_b32 s37, 32
	.loc	1 55 43                         ; mm_aot.py:55:43
	s_cmp_lt_u32 s36, 33
	v_xor_b32_e32 v61, 0x220, v60
	.loc	1 57 20                         ; mm_aot.py:57:20
	s_waitcnt lgkmcnt(0)
	s_barrier
	.loc	1 65 29                         ; mm_aot.py:65:29
	v_mfma_f32_32x32x16_f16 v[2:17], v[86:89], v[78:81], v[2:17]
	.loc	1 57 20                         ; mm_aot.py:57:20
	s_waitcnt vmcnt(11)
	ds_write_b16 v56, v90
	s_waitcnt vmcnt(10)
	ds_write_b16 v56, v91 offset:1024
	s_waitcnt vmcnt(9)
	ds_write_b16 v56, v92 offset:2048
	;; [unrolled: 2-line block ×7, first 2 shown]
	.loc	1 58 20                         ; mm_aot.py:58:20
	s_waitcnt vmcnt(3)
	ds_write_b16 v56, v1 offset:8192
	s_waitcnt vmcnt(2)
	ds_write_b16 v56, v74 offset:10240
	;; [unrolled: 2-line block ×4, first 2 shown]
	.loc	1 55 43                         ; mm_aot.py:55:43
	s_cbranch_scc1 .LBB0_40
; %bb.38:                               ; %.peel.next
	s_bfe_u32 s26, s22, 0x30006
	s_lshl_b64 s[20:21], s[18:19], 6
	s_or_b32 s19, s26, 0x50
	s_mul_hi_i32 s23, s19, s18
	s_mul_i32 s22, s19, s18
	s_or_b32 s19, s26, 0x48
	s_or_b32 s16, s26, 0x58
	s_mul_hi_i32 s25, s19, s18
	s_mul_i32 s24, s19, s18
	s_or_b32 s19, s26, 64
	v_and_or_b32 v0, v0, 31, 64
	s_mul_hi_i32 s17, s16, s18
	s_mul_i32 s16, s16, s18
	s_mul_hi_i32 s27, s19, s18
	s_mul_i32 s26, s19, s18
	v_mad_i64_i32 v[0:1], s[38:39], v0, s12, 0
	s_lshl_b64 s[16:17], s[16:17], 1
	s_lshl_b64 s[22:23], s[22:23], 1
	;; [unrolled: 1-line block ×4, first 2 shown]
	v_lshlrev_b64 v[52:53], 1, v[52:53]
	v_lshl_add_u64 v[0:1], v[0:1], 1, s[2:3]
	s_lshl_b64 s[2:3], s[12:13], 6
	v_lshlrev_b64 v[48:49], 1, v[48:49]
	v_lshlrev_b64 v[46:47], 1, v[46:47]
	;; [unrolled: 1-line block ×7, first 2 shown]
.LBB0_39:                               ; =>This Inner Loop Header: Depth=1
	.loc	1 57 25                         ; mm_aot.py:57:25
	v_lshl_add_u64 v[66:67], v[0:1], 0, v[36:37]
	.loc	1 58 25                         ; mm_aot.py:58:25
	v_lshl_add_u64 v[82:83], v[50:51], 0, s[26:27]
	;; [unrolled: 2-line block ×3, first 2 shown]
	v_lshl_add_u64 v[70:71], v[0:1], 0, v[40:41]
	v_lshl_add_u64 v[72:73], v[0:1], 0, v[42:43]
	;; [unrolled: 1-line block ×5, first 2 shown]
	.loc	1 57 20 is_stmt 0               ; mm_aot.py:57:20
	v_lshl_add_u64 v[80:81], v[0:1], 0, v[52:53]
	.loc	1 58 25 is_stmt 1               ; mm_aot.py:58:25
	v_lshl_add_u64 v[84:85], v[50:51], 0, s[24:25]
	v_lshl_add_u64 v[86:87], v[50:51], 0, s[22:23]
	.loc	1 57 20                         ; mm_aot.py:57:20
	global_load_ushort v90, v[66:67], off
	global_load_ushort v91, v[68:69], off
	;; [unrolled: 1-line block ×8, first 2 shown]
	s_waitcnt lgkmcnt(0)
	s_barrier
	.loc	1 58 20                         ; mm_aot.py:58:20
	global_load_ushort v98, v[82:83], off
	global_load_ushort v99, v[84:85], off
	;; [unrolled: 1-line block ×3, first 2 shown]
	ds_read_b64_tr_b16 v[66:67], v64 offset:8192
	ds_read_b64_tr_b16 v[68:69], v65 offset:8704
	.loc	1 57 20                         ; mm_aot.py:57:20
	ds_read_b128 v[70:73], v62
	ds_read_b128 v[74:77], v63
	.loc	1 58 20                         ; mm_aot.py:58:20
	v_lshl_add_u64 v[88:89], v[50:51], 0, s[16:17]
	.loc	1 65 29                         ; mm_aot.py:65:29
	s_waitcnt lgkmcnt(1)
	v_mfma_f32_32x32x16_f16 v[2:17], v[66:69], v[70:73], v[2:17]
	.loc	1 58 20                         ; mm_aot.py:58:20
	global_load_ushort v66, v[88:89], off
	ds_read_b64_tr_b16 v[78:79], v64 offset:10240
	ds_read_b64_tr_b16 v[80:81], v65 offset:10752
	.loc	1 55 43                         ; mm_aot.py:55:43
	s_add_i32 s37, s37, 32
	v_lshl_add_u64 v[50:51], v[50:51], 0, s[20:21]
	v_lshl_add_u64 v[0:1], v[0:1], 0, s[2:3]
	s_cmp_lt_i32 s37, s36
	.loc	1 57 20                         ; mm_aot.py:57:20
	s_waitcnt lgkmcnt(0)
	.loc	1 65 29                         ; mm_aot.py:65:29
	v_mfma_f32_32x32x16_f16 v[2:17], v[78:81], v[74:77], v[2:17]
	.loc	1 57 20                         ; mm_aot.py:57:20
	s_barrier
	s_waitcnt vmcnt(11)
	ds_write_b16 v56, v90
	s_waitcnt vmcnt(10)
	ds_write_b16 v56, v91 offset:1024
	s_waitcnt vmcnt(9)
	ds_write_b16 v56, v92 offset:2048
	;; [unrolled: 2-line block ×7, first 2 shown]
	.loc	1 58 20                         ; mm_aot.py:58:20
	s_waitcnt vmcnt(3)
	ds_write_b16 v56, v98 offset:8192
	s_waitcnt vmcnt(1)
	ds_write_b16 v56, v100 offset:10240
	ds_write_b16 v57, v99 offset:9216
	s_waitcnt vmcnt(0)
	ds_write_b16 v57, v66 offset:11264
	.loc	1 55 43                         ; mm_aot.py:55:43
	s_cbranch_scc1 .LBB0_39
.LBB0_40:                               ; %._crit_edge
	.loc	1 58 20                         ; mm_aot.py:58:20
	v_add_u32_e32 v36, 0, v60
	.loc	1 57 20                         ; mm_aot.py:57:20
	s_waitcnt lgkmcnt(0)
	s_barrier
	.loc	1 58 20                         ; mm_aot.py:58:20
	v_add_u32_e32 v37, 0, v61
	ds_read_b64_tr_b16 v[44:45], v36 offset:8192
	ds_read_b64_tr_b16 v[40:41], v36 offset:10240
	;; [unrolled: 1-line block ×4, first 2 shown]
	.loc	1 55 43                         ; mm_aot.py:55:43
	s_add_i32 s2, s30, 31
	s_cmp_lt_i32 s2, 32
	v_add_u32_e32 v38, 0, v59
	v_add_u32_e32 v39, 0, v58
	.loc	1 65 29                         ; mm_aot.py:65:29
	s_cbranch_scc1 .LBB0_42
; %bb.41:
	.loc	1 57 20                         ; mm_aot.py:57:20
	ds_read_b128 v[48:51], v39
	.loc	1 65 29                         ; mm_aot.py:65:29
	s_waitcnt lgkmcnt(0)
	v_mfma_f32_32x32x16_f16 v[2:17], v[44:47], v[48:51], v[2:17]
	.loc	1 57 20                         ; mm_aot.py:57:20
	ds_read_b128 v[44:47], v38
	.loc	1 65 29                         ; mm_aot.py:65:29
	s_waitcnt lgkmcnt(0)
	v_mfma_f32_32x32x16_f16 v[2:17], v[40:43], v[44:47], v[2:17]
.LBB0_42:                               ; %._crit_edge._crit_edge
	.loc	1 68 26                         ; mm_aot.py:68:26
	v_or_b32_e32 v0, s30, v54
	.loc	1 69 18                         ; mm_aot.py:69:18
	v_cmp_gt_i32_e32 vcc, s10, v0
	.loc	1 71 54                         ; mm_aot.py:71:54
	v_mad_i64_i32 v[0:1], s[2:3], v0, s12, 0
	s_waitcnt lgkmcnt(2)
	v_mov_b32_e32 v40, 0
	v_mov_b32_e32 v41, 0
	.loc	1 71 8 is_stmt 0                ; mm_aot.py:71:8
	s_and_saveexec_b64 s[2:3], vcc
	s_cbranch_execz .LBB0_44
; %bb.43:
	.loc	1 0 8                           ; mm_aot.py:0:8
	v_lshl_add_u64 v[18:19], v[0:1], 1, v[18:19]
	.loc	1 71 8                          ; mm_aot.py:71:8
	global_load_ushort v41, v[18:19], off
.LBB0_44:
	.loc	1 0 8                           ; mm_aot.py:0:8
	s_or_b64 exec, exec, s[2:3]
	.loc	1 71 8                          ; mm_aot.py:71:8
	s_and_saveexec_b64 s[2:3], vcc
	s_cbranch_execz .LBB0_46
; %bb.45:
	.loc	1 71 13                         ; mm_aot.py:71:13
	v_lshl_add_u64 v[18:19], v[0:1], 1, v[20:21]
	.loc	1 71 8                          ; mm_aot.py:71:8
	global_load_ushort v40, v[18:19], off
.LBB0_46:
	.loc	1 0 8                           ; mm_aot.py:0:8
	s_or_b64 exec, exec, s[2:3]
	v_mov_b32_e32 v18, 0
	v_mov_b32_e32 v19, 0
	.loc	1 71 8                          ; mm_aot.py:71:8
	s_and_saveexec_b64 s[2:3], vcc
	s_cbranch_execz .LBB0_48
; %bb.47:
	.loc	1 71 13                         ; mm_aot.py:71:13
	v_lshl_add_u64 v[20:21], v[0:1], 1, v[22:23]
	.loc	1 71 8                          ; mm_aot.py:71:8
	global_load_ushort v19, v[20:21], off
.LBB0_48:
	.loc	1 0 8                           ; mm_aot.py:0:8
	s_or_b64 exec, exec, s[2:3]
	.loc	1 71 8                          ; mm_aot.py:71:8
	s_and_saveexec_b64 s[2:3], vcc
	s_cbranch_execz .LBB0_50
; %bb.49:
	.loc	1 71 13                         ; mm_aot.py:71:13
	v_lshl_add_u64 v[20:21], v[0:1], 1, v[24:25]
	.loc	1 71 8                          ; mm_aot.py:71:8
	global_load_ushort v18, v[20:21], off
.LBB0_50:
	.loc	1 0 8                           ; mm_aot.py:0:8
	s_or_b64 exec, exec, s[2:3]
	v_mov_b32_e32 v20, 0
	v_mov_b32_e32 v21, 0
	.loc	1 71 8                          ; mm_aot.py:71:8
	s_and_saveexec_b64 s[2:3], vcc
	s_cbranch_execz .LBB0_52
; %bb.51:
	.loc	1 71 13                         ; mm_aot.py:71:13
	v_lshl_add_u64 v[22:23], v[0:1], 1, v[28:29]
	.loc	1 71 8                          ; mm_aot.py:71:8
	global_load_ushort v21, v[22:23], off
.LBB0_52:
	.loc	1 0 8                           ; mm_aot.py:0:8
	s_or_b64 exec, exec, s[2:3]
	.loc	1 71 8                          ; mm_aot.py:71:8
	s_and_saveexec_b64 s[2:3], vcc
	s_cbranch_execz .LBB0_54
; %bb.53:
	.loc	1 71 13                         ; mm_aot.py:71:13
	v_lshl_add_u64 v[22:23], v[0:1], 1, v[30:31]
	.loc	1 71 8                          ; mm_aot.py:71:8
	global_load_ushort v20, v[22:23], off
.LBB0_54:
	.loc	1 0 8                           ; mm_aot.py:0:8
	s_or_b64 exec, exec, s[2:3]
	v_mov_b32_e32 v22, 0
	v_mov_b32_e32 v23, 0
	.loc	1 71 8                          ; mm_aot.py:71:8
	s_and_saveexec_b64 s[2:3], vcc
	s_cbranch_execnz .LBB0_61
; %bb.55:
	.loc	1 0 8                           ; mm_aot.py:0:8
	s_or_b64 exec, exec, s[2:3]
	.loc	1 71 8                          ; mm_aot.py:71:8
	s_and_saveexec_b64 s[2:3], vcc
	s_cbranch_execnz .LBB0_62
.LBB0_56:
	.loc	1 0 8                           ; mm_aot.py:0:8
	s_or_b64 exec, exec, s[2:3]
	.loc	1 68 26 is_stmt 1               ; mm_aot.py:68:26
	s_or_b32 s2, s31, s30
	.loc	1 69 18                         ; mm_aot.py:69:18
	s_cmp_ge_i32 s2, s10
	.loc	1 76 8                          ; mm_aot.py:76:8
	s_cbranch_scc1 .LBB0_63
.LBB0_57:
	.loc	1 76 27 is_stmt 0               ; mm_aot.py:76:27
	s_mul_hi_i32 s3, s2, s18
	s_mul_i32 s2, s2, s18
	.loc	1 76 13                         ; mm_aot.py:76:13
	s_lshl_b64 s[2:3], s[2:3], 1
	s_add_u32 s2, s4, s2
	s_addc_u32 s3, s5, s3
	v_lshl_add_u64 v[0:1], v[26:27], 1, s[2:3]
	.loc	1 76 8                          ; mm_aot.py:76:8
	global_load_ushort v0, v[0:1], off
	.loc	1 68 26 is_stmt 1               ; mm_aot.py:68:26
	s_or_b32 s2, s33, s30
	.loc	1 69 18                         ; mm_aot.py:69:18
	s_cmp_ge_i32 s2, s10
	.loc	1 76 8                          ; mm_aot.py:76:8
	s_cbranch_scc0 .LBB0_64
.LBB0_58:
	.loc	1 0 8 is_stmt 0                 ; mm_aot.py:0:8
	v_mov_b32_e32 v1, 0
	.loc	1 68 26 is_stmt 1               ; mm_aot.py:68:26
	s_or_b32 s2, s34, s30
	.loc	1 69 18                         ; mm_aot.py:69:18
	s_cmp_ge_i32 s2, s10
	.loc	1 76 8                          ; mm_aot.py:76:8
	s_cbranch_scc0 .LBB0_65
.LBB0_59:
	.loc	1 0 8 is_stmt 0                 ; mm_aot.py:0:8
	v_mov_b32_e32 v24, 0
	s_load_dword s2, s[0:1], 0x38
	.loc	1 68 26 is_stmt 1               ; mm_aot.py:68:26
	s_or_b32 s0, s35, s30
	.loc	1 69 18                         ; mm_aot.py:69:18
	s_cmp_ge_i32 s0, s10
	.loc	1 76 8                          ; mm_aot.py:76:8
	s_cbranch_scc0 .LBB0_66
.LBB0_60:
	.loc	1 0 8 is_stmt 0                 ; mm_aot.py:0:8
	v_mov_b32_e32 v25, 0
	.loc	1 76 8                          ; mm_aot.py:76:8
	s_branch .LBB0_67
.LBB0_61:
	.loc	1 71 13 is_stmt 1               ; mm_aot.py:71:13
	v_lshl_add_u64 v[24:25], v[0:1], 1, v[32:33]
	.loc	1 71 8 is_stmt 0                ; mm_aot.py:71:8
	global_load_ushort v23, v[24:25], off
	s_or_b64 exec, exec, s[2:3]
	s_and_saveexec_b64 s[2:3], vcc
	s_cbranch_execz .LBB0_56
.LBB0_62:
	.loc	1 71 13                         ; mm_aot.py:71:13
	v_lshl_add_u64 v[0:1], v[0:1], 1, v[34:35]
	.loc	1 71 8                          ; mm_aot.py:71:8
	global_load_ushort v22, v[0:1], off
	s_or_b64 exec, exec, s[2:3]
	.loc	1 68 26 is_stmt 1               ; mm_aot.py:68:26
	s_or_b32 s2, s31, s30
	.loc	1 69 18                         ; mm_aot.py:69:18
	s_cmp_ge_i32 s2, s10
	.loc	1 76 8                          ; mm_aot.py:76:8
	s_cbranch_scc0 .LBB0_57
.LBB0_63:
	.loc	1 0 8 is_stmt 0                 ; mm_aot.py:0:8
	v_mov_b32_e32 v0, 0
	.loc	1 68 26 is_stmt 1               ; mm_aot.py:68:26
	s_or_b32 s2, s33, s30
	.loc	1 69 18                         ; mm_aot.py:69:18
	s_cmp_ge_i32 s2, s10
	.loc	1 76 8                          ; mm_aot.py:76:8
	s_cbranch_scc1 .LBB0_58
.LBB0_64:
	.loc	1 76 27 is_stmt 0               ; mm_aot.py:76:27
	s_mul_hi_i32 s3, s2, s18
	s_mul_i32 s2, s2, s18
	.loc	1 76 13                         ; mm_aot.py:76:13
	s_lshl_b64 s[2:3], s[2:3], 1
	s_add_u32 s2, s4, s2
	s_addc_u32 s3, s5, s3
	v_lshl_add_u64 v[24:25], v[26:27], 1, s[2:3]
	.loc	1 76 8                          ; mm_aot.py:76:8
	global_load_ushort v1, v[24:25], off
	.loc	1 68 26 is_stmt 1               ; mm_aot.py:68:26
	s_or_b32 s2, s34, s30
	.loc	1 69 18                         ; mm_aot.py:69:18
	s_cmp_ge_i32 s2, s10
	.loc	1 76 8                          ; mm_aot.py:76:8
	s_cbranch_scc1 .LBB0_59
.LBB0_65:
	.loc	1 76 27 is_stmt 0               ; mm_aot.py:76:27
	s_mul_hi_i32 s3, s2, s18
	s_mul_i32 s2, s2, s18
	.loc	1 76 13                         ; mm_aot.py:76:13
	s_lshl_b64 s[2:3], s[2:3], 1
	s_add_u32 s2, s4, s2
	s_addc_u32 s3, s5, s3
	v_lshl_add_u64 v[24:25], v[26:27], 1, s[2:3]
	.loc	1 76 8                          ; mm_aot.py:76:8
	global_load_ushort v24, v[24:25], off
	s_load_dword s2, s[0:1], 0x38
	.loc	1 68 26 is_stmt 1               ; mm_aot.py:68:26
	s_or_b32 s0, s35, s30
	.loc	1 69 18                         ; mm_aot.py:69:18
	s_cmp_ge_i32 s0, s10
	.loc	1 76 8                          ; mm_aot.py:76:8
	s_cbranch_scc1 .LBB0_60
.LBB0_66:
	.loc	1 76 27 is_stmt 0               ; mm_aot.py:76:27
	s_mul_hi_i32 s1, s0, s18
	s_mul_i32 s0, s0, s18
	.loc	1 76 13                         ; mm_aot.py:76:13
	s_lshl_b64 s[0:1], s[0:1], 1
	s_add_u32 s0, s4, s0
	s_addc_u32 s1, s5, s1
	v_lshl_add_u64 v[26:27], v[26:27], 1, s[0:1]
	.loc	1 76 8                          ; mm_aot.py:76:8
	global_load_ushort v25, v[26:27], off
.LBB0_67:
	.loc	1 71 8 is_stmt 1                ; mm_aot.py:71:8
	s_waitcnt lgkmcnt(0)
	s_barrier
	s_waitcnt vmcnt(0)
	ds_write_b16 v56, v41
	ds_write_b16 v56, v40 offset:1024
	ds_write_b16 v56, v19 offset:2048
	;; [unrolled: 1-line block ×7, first 2 shown]
	s_waitcnt lgkmcnt(0)
	s_barrier
	ds_read_b128 v[18:21], v39
	ds_read_b128 v[26:29], v38
	.loc	1 76 8                          ; mm_aot.py:76:8
	s_waitcnt lgkmcnt(0)
	s_barrier
	ds_write_b16 v56, v0
	ds_write_b16 v56, v24 offset:2048
	ds_write_b16 v57, v1 offset:1024
	;; [unrolled: 1-line block ×3, first 2 shown]
	s_waitcnt lgkmcnt(0)
	s_barrier
	ds_read_b64_tr_b16 v[22:23], v36
	ds_read_b64_tr_b16 v[24:25], v37
	ds_read_b64_tr_b16 v[30:31], v36 offset:2048
	ds_read_b64_tr_b16 v[32:33], v37 offset:2048
	.loc	1 86 25                         ; mm_aot.py:86:25
	s_waitcnt lgkmcnt(2)
	v_mfma_f32_32x32x16_f16 v[2:17], v[22:25], v[18:21], v[2:17]
	.loc	1 43 40                         ; mm_aot.py:43:40
	s_lshr_b32 s0, s14, 2
	v_or_b32_e32 v0, s0, v54
	.loc	1 43 27 is_stmt 0               ; mm_aot.py:43:27
	v_or_b32_e32 v21, s28, v0
	.loc	1 44 40 is_stmt 1               ; mm_aot.py:44:40
	v_lshrrev_b32_e32 v0, 2, v55
	s_lshr_b32 s0, s11, 1
	v_or_b32_e32 v0, s0, v0
	.loc	1 44 27 is_stmt 0               ; mm_aot.py:44:27
	v_or_b32_e32 v18, s29, v0
	.loc	1 86 25 is_stmt 1               ; mm_aot.py:86:25
	s_waitcnt lgkmcnt(0)
	v_mfma_f32_32x32x16_f16 v[2:17], v[30:33], v[26:29], v[2:17]
	.loc	1 92 27                         ; mm_aot.py:92:27
	v_mad_i64_i32 v[0:1], s[0:1], v21, s15, 0
	.loc	1 93 17                         ; mm_aot.py:93:17
	v_cmp_gt_i32_e32 vcc, s8, v21
	.loc	1 93 37 is_stmt 0               ; mm_aot.py:93:37
	v_cmp_gt_i32_e64 s[0:1], s9, v18
	.loc	1 92 13 is_stmt 1               ; mm_aot.py:92:13
	v_lshl_add_u64 v[0:1], v[0:1], 1, s[6:7]
	.loc	1 93 31                         ; mm_aot.py:93:31
	s_and_b64 s[4:5], vcc, s[0:1]
	.loc	1 88 17                         ; mm_aot.py:88:17
	s_nop 6
	v_cvt_pk_f16_f32 v20, v2, v3
	v_cvt_pk_f16_f32 v19, v4, v5
	;; [unrolled: 1-line block ×8, first 2 shown]
	v_permlane32_swap_b32_e32 v20, v7
	v_permlane32_swap_b32_e32 v19, v6
	;; [unrolled: 1-line block ×4, first 2 shown]
	.loc	1 95 16                         ; mm_aot.py:95:16
	s_and_saveexec_b64 s[0:1], s[4:5]
	s_cbranch_execz .LBB0_69
; %bb.68:
	.loc	1 92 53                         ; mm_aot.py:92:53
	v_mad_i64_i32 v[8:9], s[4:5], v18, s2, 0
	.loc	1 92 13 is_stmt 0               ; mm_aot.py:92:13
	v_lshl_add_u64 v[8:9], v[8:9], 1, v[0:1]
	.loc	1 95 16 is_stmt 1               ; mm_aot.py:95:16
	global_store_short v[8:9], v20, off
.LBB0_69:
	.loc	1 0 16 is_stmt 0                ; mm_aot.py:0:16
	s_or_b64 exec, exec, s[0:1]
	.loc	1 44 27 is_stmt 1               ; mm_aot.py:44:27
	v_or_b32_e32 v8, 1, v18
	.loc	1 93 37                         ; mm_aot.py:93:37
	v_cmp_gt_i32_e64 s[0:1], s9, v8
	.loc	1 93 31 is_stmt 0               ; mm_aot.py:93:31
	s_and_b64 s[4:5], vcc, s[0:1]
	.loc	1 95 16 is_stmt 1               ; mm_aot.py:95:16
	s_and_saveexec_b64 s[0:1], s[4:5]
	s_cbranch_execz .LBB0_71
; %bb.70:
	.loc	1 92 53                         ; mm_aot.py:92:53
	v_mad_i64_i32 v[8:9], s[4:5], v8, s2, 0
	.loc	1 92 13 is_stmt 0               ; mm_aot.py:92:13
	v_lshl_add_u64 v[8:9], v[8:9], 1, v[0:1]
	.loc	1 95 16 is_stmt 1               ; mm_aot.py:95:16
	global_store_short_d16_hi v[8:9], v20, off
.LBB0_71:
	.loc	1 0 16 is_stmt 0                ; mm_aot.py:0:16
	s_or_b64 exec, exec, s[0:1]
	.loc	1 44 27 is_stmt 1               ; mm_aot.py:44:27
	v_or_b32_e32 v8, 2, v18
	.loc	1 93 37                         ; mm_aot.py:93:37
	v_cmp_gt_i32_e64 s[0:1], s9, v8
	.loc	1 93 31 is_stmt 0               ; mm_aot.py:93:31
	s_and_b64 s[4:5], vcc, s[0:1]
	.loc	1 95 16 is_stmt 1               ; mm_aot.py:95:16
	s_and_saveexec_b64 s[0:1], s[4:5]
	s_cbranch_execz .LBB0_73
; %bb.72:
	.loc	1 92 53                         ; mm_aot.py:92:53
	v_mad_i64_i32 v[8:9], s[4:5], v8, s2, 0
	.loc	1 92 13 is_stmt 0               ; mm_aot.py:92:13
	v_lshl_add_u64 v[8:9], v[8:9], 1, v[0:1]
	.loc	1 95 16 is_stmt 1               ; mm_aot.py:95:16
	global_store_short v[8:9], v19, off
.LBB0_73:
	.loc	1 0 16 is_stmt 0                ; mm_aot.py:0:16
	s_or_b64 exec, exec, s[0:1]
	.loc	1 44 27 is_stmt 1               ; mm_aot.py:44:27
	v_or_b32_e32 v8, 3, v18
	.loc	1 93 37                         ; mm_aot.py:93:37
	v_cmp_gt_i32_e64 s[0:1], s9, v8
	.loc	1 93 31 is_stmt 0               ; mm_aot.py:93:31
	s_and_b64 s[4:5], vcc, s[0:1]
	.loc	1 95 16 is_stmt 1               ; mm_aot.py:95:16
	s_and_saveexec_b64 s[0:1], s[4:5]
	s_cbranch_execz .LBB0_75
; %bb.74:
	.loc	1 92 53                         ; mm_aot.py:92:53
	v_mad_i64_i32 v[8:9], s[4:5], v8, s2, 0
	.loc	1 92 13 is_stmt 0               ; mm_aot.py:92:13
	v_lshl_add_u64 v[8:9], v[8:9], 1, v[0:1]
	.loc	1 95 16 is_stmt 1               ; mm_aot.py:95:16
	global_store_short_d16_hi v[8:9], v19, off
.LBB0_75:
	.loc	1 0 16 is_stmt 0                ; mm_aot.py:0:16
	s_or_b64 exec, exec, s[0:1]
	.loc	1 44 27 is_stmt 1               ; mm_aot.py:44:27
	v_or_b32_e32 v8, 4, v18
	.loc	1 93 37                         ; mm_aot.py:93:37
	v_cmp_gt_i32_e64 s[0:1], s9, v8
	.loc	1 93 31 is_stmt 0               ; mm_aot.py:93:31
	s_and_b64 s[4:5], vcc, s[0:1]
	.loc	1 95 16 is_stmt 1               ; mm_aot.py:95:16
	;; [unrolled: 38-line block ×7, first 2 shown]
	s_and_saveexec_b64 s[0:1], s[4:5]
	s_cbranch_execz .LBB0_97
; %bb.96:
	.loc	1 92 53                         ; mm_aot.py:92:53
	v_mad_i64_i32 v[4:5], s[4:5], v3, s2, 0
	.loc	1 92 13 is_stmt 0               ; mm_aot.py:92:13
	v_lshl_add_u64 v[4:5], v[4:5], 1, v[0:1]
	.loc	1 95 16 is_stmt 1               ; mm_aot.py:95:16
	global_store_short v[4:5], v2, off
.LBB0_97:
	.loc	1 0 16 is_stmt 0                ; mm_aot.py:0:16
	s_or_b64 exec, exec, s[0:1]
	.loc	1 44 27 is_stmt 1               ; mm_aot.py:44:27
	v_or_b32_e32 v3, 23, v18
	.loc	1 93 37                         ; mm_aot.py:93:37
	v_cmp_gt_i32_e64 s[0:1], s9, v3
	.loc	1 93 31 is_stmt 0               ; mm_aot.py:93:31
	s_and_b64 s[0:1], vcc, s[0:1]
	.loc	1 95 16 is_stmt 1               ; mm_aot.py:95:16
	s_and_saveexec_b64 s[4:5], s[0:1]
	s_cbranch_execz .LBB0_99
; %bb.98:
	.loc	1 92 53                         ; mm_aot.py:92:53
	v_mad_i64_i32 v[4:5], s[0:1], v3, s2, 0
	.loc	1 92 13 is_stmt 0               ; mm_aot.py:92:13
	v_lshl_add_u64 v[0:1], v[4:5], 1, v[0:1]
	.loc	1 95 16 is_stmt 1               ; mm_aot.py:95:16
	global_store_short_d16_hi v[0:1], v2, off
.LBB0_99:
	.loc	1 95 4 is_stmt 0                ; mm_aot.py:95:4
	s_endpgm
.Ltmp19:
	.section	.rodata,"a",@progbits
	.p2align	6, 0x0
	.amdhsa_kernel mm_kernel_general
		.amdhsa_group_segment_fixed_size 0
		.amdhsa_private_segment_fixed_size 0
		.amdhsa_kernarg_size 80
		.amdhsa_user_sgpr_count 16
		.amdhsa_user_sgpr_dispatch_ptr 0
		.amdhsa_user_sgpr_queue_ptr 0
		.amdhsa_user_sgpr_kernarg_segment_ptr 1
		.amdhsa_user_sgpr_dispatch_id 0
		.amdhsa_user_sgpr_kernarg_preload_length 14
		.amdhsa_user_sgpr_kernarg_preload_offset 0
		.amdhsa_user_sgpr_private_segment_size 0
		.amdhsa_uses_dynamic_stack 0
		.amdhsa_enable_private_segment 0
		.amdhsa_system_sgpr_workgroup_id_x 1
		.amdhsa_system_sgpr_workgroup_id_y 0
		.amdhsa_system_sgpr_workgroup_id_z 0
		.amdhsa_system_sgpr_workgroup_info 0
		.amdhsa_system_vgpr_workitem_id 0
		.amdhsa_next_free_vgpr 101
		.amdhsa_next_free_sgpr 40
		.amdhsa_accum_offset 104
		.amdhsa_reserve_vcc 1
		.amdhsa_reserve_xnack_mask 1
		.amdhsa_float_round_mode_32 0
		.amdhsa_float_round_mode_16_64 0
		.amdhsa_float_denorm_mode_32 3
		.amdhsa_float_denorm_mode_16_64 3
		.amdhsa_dx10_clamp 1
		.amdhsa_ieee_mode 1
		.amdhsa_fp16_overflow 0
		.amdhsa_tg_split 0
		.amdhsa_exception_fp_ieee_invalid_op 0
		.amdhsa_exception_fp_denorm_src 0
		.amdhsa_exception_fp_ieee_div_zero 0
		.amdhsa_exception_fp_ieee_overflow 0
		.amdhsa_exception_fp_ieee_underflow 0
		.amdhsa_exception_fp_ieee_inexact 0
		.amdhsa_exception_int_div_zero 0
	.end_amdhsa_kernel
	.text
.Lfunc_end0:
	.size	mm_kernel_general, .Lfunc_end0-mm_kernel_general
	.cfi_endproc
                                        ; -- End function
	.set mm_kernel_general.num_vgpr, 101
	.set mm_kernel_general.num_agpr, 0
	.set mm_kernel_general.numbered_sgpr, 40
	.set mm_kernel_general.num_named_barrier, 0
	.set mm_kernel_general.private_seg_size, 0
	.set mm_kernel_general.uses_vcc, 1
	.set mm_kernel_general.uses_flat_scratch, 0
	.set mm_kernel_general.has_dyn_sized_stack, 0
	.set mm_kernel_general.has_recursion, 0
	.set mm_kernel_general.has_indirect_call, 0
	.section	.AMDGPU.csdata,"",@progbits
; Kernel info:
; codeLenInByte = 5456
; TotalNumSgprs: 46
; NumVgprs: 101
; NumAgprs: 0
; TotalNumVgprs: 101
; ScratchSize: 0
; MemoryBound: 0
; FloatMode: 240
; IeeeMode: 1
; LDSByteSize: 0 bytes/workgroup (compile time only)
; SGPRBlocks: 5
; VGPRBlocks: 12
; NumSGPRsForWavesPerEU: 46
; NumVGPRsForWavesPerEU: 101
; AccumOffset: 104
; Occupancy: 4
; WaveLimiterHint : 0
; COMPUTE_PGM_RSRC2:SCRATCH_EN: 0
; COMPUTE_PGM_RSRC2:USER_SGPR: 16
; COMPUTE_PGM_RSRC2:TRAP_HANDLER: 0
; COMPUTE_PGM_RSRC2:TGID_X_EN: 1
; COMPUTE_PGM_RSRC2:TGID_Y_EN: 0
; COMPUTE_PGM_RSRC2:TGID_Z_EN: 0
; COMPUTE_PGM_RSRC2:TIDIG_COMP_CNT: 0
; COMPUTE_PGM_RSRC3_GFX90A:ACCUM_OFFSET: 25
; COMPUTE_PGM_RSRC3_GFX90A:TG_SPLIT: 0
	.text
	.p2alignl 6, 3212836864
	.fill 256, 4, 3212836864
	.section	.AMDGPU.gpr_maximums,"",@progbits
	.set amdgpu.max_num_vgpr, 0
	.set amdgpu.max_num_agpr, 0
	.set amdgpu.max_num_sgpr, 0
	.set amdgpu.max_num_named_barrier, 0
	.text
	.section	.debug_abbrev,"",@progbits
	.byte	1                               ; Abbreviation Code
	.byte	17                              ; DW_TAG_compile_unit
	.byte	1                               ; DW_CHILDREN_yes
	.byte	37                              ; DW_AT_producer
	.byte	14                              ; DW_FORM_strp
	.byte	19                              ; DW_AT_language
	.byte	5                               ; DW_FORM_data2
	.byte	3                               ; DW_AT_name
	.byte	14                              ; DW_FORM_strp
	.byte	16                              ; DW_AT_stmt_list
	.byte	23                              ; DW_FORM_sec_offset
	.byte	27                              ; DW_AT_comp_dir
	.byte	14                              ; DW_FORM_strp
	.byte	17                              ; DW_AT_low_pc
	.byte	1                               ; DW_FORM_addr
	.byte	18                              ; DW_AT_high_pc
	.byte	6                               ; DW_FORM_data4
	.byte	0                               ; EOM(1)
	.byte	0                               ; EOM(2)
	.byte	2                               ; Abbreviation Code
	.byte	46                              ; DW_TAG_subprogram
	.byte	0                               ; DW_CHILDREN_no
	.byte	3                               ; DW_AT_name
	.byte	14                              ; DW_FORM_strp
	.byte	32                              ; DW_AT_inline
	.byte	11                              ; DW_FORM_data1
	.byte	0                               ; EOM(1)
	.byte	0                               ; EOM(2)
	.byte	3                               ; Abbreviation Code
	.byte	46                              ; DW_TAG_subprogram
	.byte	1                               ; DW_CHILDREN_yes
	.byte	17                              ; DW_AT_low_pc
	.byte	1                               ; DW_FORM_addr
	.byte	18                              ; DW_AT_high_pc
	.byte	6                               ; DW_FORM_data4
	.byte	49                              ; DW_AT_abstract_origin
	.byte	19                              ; DW_FORM_ref4
	.byte	0                               ; EOM(1)
	.byte	0                               ; EOM(2)
	.byte	4                               ; Abbreviation Code
	.byte	29                              ; DW_TAG_inlined_subroutine
	.byte	0                               ; DW_CHILDREN_no
	.byte	49                              ; DW_AT_abstract_origin
	.byte	19                              ; DW_FORM_ref4
	.byte	17                              ; DW_AT_low_pc
	.byte	1                               ; DW_FORM_addr
	.byte	18                              ; DW_AT_high_pc
	.byte	6                               ; DW_FORM_data4
	.byte	88                              ; DW_AT_call_file
	.byte	11                              ; DW_FORM_data1
	.byte	89                              ; DW_AT_call_line
	.byte	11                              ; DW_FORM_data1
	.byte	87                              ; DW_AT_call_column
	.byte	11                              ; DW_FORM_data1
	.byte	0                               ; EOM(1)
	.byte	0                               ; EOM(2)
	.byte	5                               ; Abbreviation Code
	.byte	29                              ; DW_TAG_inlined_subroutine
	.byte	0                               ; DW_CHILDREN_no
	.byte	49                              ; DW_AT_abstract_origin
	.byte	19                              ; DW_FORM_ref4
	.byte	85                              ; DW_AT_ranges
	.byte	23                              ; DW_FORM_sec_offset
	.byte	88                              ; DW_AT_call_file
	.byte	11                              ; DW_FORM_data1
	.byte	89                              ; DW_AT_call_line
	.byte	11                              ; DW_FORM_data1
	.byte	87                              ; DW_AT_call_column
	.byte	11                              ; DW_FORM_data1
	.byte	0                               ; EOM(1)
	.byte	0                               ; EOM(2)
	.byte	6                               ; Abbreviation Code
	.byte	29                              ; DW_TAG_inlined_subroutine
	.byte	1                               ; DW_CHILDREN_yes
	.byte	49                              ; DW_AT_abstract_origin
	.byte	19                              ; DW_FORM_ref4
	.byte	85                              ; DW_AT_ranges
	.byte	23                              ; DW_FORM_sec_offset
	.byte	88                              ; DW_AT_call_file
	.byte	11                              ; DW_FORM_data1
	.byte	89                              ; DW_AT_call_line
	.byte	11                              ; DW_FORM_data1
	.byte	87                              ; DW_AT_call_column
	.byte	11                              ; DW_FORM_data1
	.byte	0                               ; EOM(1)
	.byte	0                               ; EOM(2)
	;; [unrolled: 1-line block ×3, first 2 shown]
	.section	.debug_info,"",@progbits
.Lcu_begin0:
	.long	.Ldebug_info_end0-.Ldebug_info_start0 ; Length of Unit
.Ldebug_info_start0:
	.short	4                               ; DWARF version number
	.long	.debug_abbrev                   ; Offset Into Abbrev. Section
	.byte	8                               ; Address Size (in bytes)
	.byte	1                               ; Abbrev [1] 0xb:0x71 DW_TAG_compile_unit
	.long	.Linfo_string0                  ; DW_AT_producer
	.short	2                               ; DW_AT_language
	.long	.Linfo_string1                  ; DW_AT_name
	.long	.Lline_table_start0             ; DW_AT_stmt_list
	.long	.Linfo_string2                  ; DW_AT_comp_dir
	.quad	.Lfunc_begin0                   ; DW_AT_low_pc
	.long	.Lfunc_end0-.Lfunc_begin0       ; DW_AT_high_pc
	.byte	2                               ; Abbrev [2] 0x2a:0x6 DW_TAG_subprogram
	.long	.Linfo_string3                  ; DW_AT_name
	.byte	1                               ; DW_AT_inline
	.byte	3                               ; Abbrev [3] 0x30:0x4b DW_TAG_subprogram
	.quad	.Lfunc_begin0                   ; DW_AT_low_pc
	.long	.Lfunc_end0-.Lfunc_begin0       ; DW_AT_high_pc
	.long	42                              ; DW_AT_abstract_origin
	.byte	4                               ; Abbrev [4] 0x41:0x14 DW_TAG_inlined_subroutine
	.long	42                              ; DW_AT_abstract_origin
	.quad	.Ltmp1                          ; DW_AT_low_pc
	.long	.Ltmp2-.Ltmp1                   ; DW_AT_high_pc
	.byte	1                               ; DW_AT_call_file
	.byte	35                              ; DW_AT_call_line
	.byte	24                              ; DW_AT_call_column
	.byte	5                               ; Abbrev [5] 0x55:0xc DW_TAG_inlined_subroutine
	.long	42                              ; DW_AT_abstract_origin
	.long	.Ldebug_ranges0                 ; DW_AT_ranges
	.byte	1                               ; DW_AT_call_file
	.byte	34                              ; DW_AT_call_line
	.byte	24                              ; DW_AT_call_column
	.byte	6                               ; Abbrev [6] 0x61:0x19 DW_TAG_inlined_subroutine
	.long	42                              ; DW_AT_abstract_origin
	.long	.Ldebug_ranges1                 ; DW_AT_ranges
	;; [unrolled: 6-line block ×3, first 2 shown]
	.byte	1                               ; DW_AT_call_file
	.byte	10                              ; DW_AT_call_line
	.byte	22                              ; DW_AT_call_column
	.byte	0                               ; End Of Children Mark
	.byte	0                               ; End Of Children Mark
	;; [unrolled: 1-line block ×3, first 2 shown]
.Ldebug_info_end0:
	.section	.debug_ranges,"",@progbits
.Ldebug_ranges0:
	.quad	.Ltmp3-.Lfunc_begin0
	.quad	.Ltmp4-.Lfunc_begin0
	;; [unrolled: 1-line block ×8, first 2 shown]
	.quad	0
	.quad	0
.Ldebug_ranges1:
	.quad	.Ltmp11-.Lfunc_begin0
	.quad	.Ltmp12-.Lfunc_begin0
	;; [unrolled: 1-line block ×8, first 2 shown]
	.quad	0
	.quad	0
.Ldebug_ranges2:
	.quad	.Ltmp11-.Lfunc_begin0
	.quad	.Ltmp12-.Lfunc_begin0
	;; [unrolled: 1-line block ×4, first 2 shown]
	.quad	0
	.quad	0
	.section	.debug_str,"MS",@progbits,1
.Linfo_string0:
	.asciz	"triton"                        ; string offset=0
.Linfo_string1:
	.asciz	"mm_aot.py"                     ; string offset=7
.Linfo_string2:
	.asciz	"/root/src/amdgpu-assembly/repos/FlagOpen__FlagGems/triton_aot_kernels" ; string offset=17
.Linfo_string3:
	.asciz	"mm_kernel_general"             ; string offset=87
	.section	".note.GNU-stack","",@progbits
	.amdgpu_metadata
---
amdhsa.kernels:
  - .agpr_count:     0
    .args:
      - .address_space:  global
        .offset:         0
        .size:           8
        .value_kind:     global_buffer
      - .address_space:  global
        .offset:         8
        .size:           8
        .value_kind:     global_buffer
      - .address_space:  global
        .offset:         16
        .size:           8
        .value_kind:     global_buffer
      - .offset:         24
        .size:           4
        .value_kind:     by_value
      - .offset:         28
        .size:           4
        .value_kind:     by_value
      - .offset:         32
        .size:           4
        .value_kind:     by_value
      - .offset:         36
        .size:           4
        .value_kind:     by_value
      - .offset:         40
        .size:           4
        .value_kind:     by_value
      - .offset:         44
        .size:           4
        .value_kind:     by_value
      - .offset:         48
        .size:           4
        .value_kind:     by_value
      - .offset:         52
        .size:           4
        .value_kind:     by_value
      - .offset:         56
        .size:           4
        .value_kind:     by_value
      - .address_space:  global
        .offset:         64
        .size:           8
        .value_kind:     global_buffer
      - .address_space:  global
        .offset:         72
        .size:           8
        .value_kind:     global_buffer
    .group_segment_fixed_size: 0
    .kernarg_segment_align: 8
    .kernarg_segment_size: 80
    .max_flat_workgroup_size: 512
    .name:           mm_kernel_general
    .private_segment_fixed_size: 0
    .sgpr_count:     46
    .sgpr_spill_count: 0
    .symbol:         mm_kernel_general.kd
    .uniform_work_group_size: 1
    .uses_dynamic_stack: false
    .vgpr_count:     101
    .vgpr_spill_count: 0
    .wavefront_size: 64
amdhsa.target:   amdgcn-amd-amdhsa--gfx950
amdhsa.version:
  - 1
  - 2
...

	.end_amdgpu_metadata
	.section	.debug_line,"",@progbits
.Lline_table_start0:
